;; amdgpu-corpus repo=ROCm/rocFFT kind=compiled arch=gfx906 opt=O3
	.text
	.amdgcn_target "amdgcn-amd-amdhsa--gfx906"
	.amdhsa_code_object_version 6
	.protected	bluestein_single_back_len128_dim1_half_op_CI_CI ; -- Begin function bluestein_single_back_len128_dim1_half_op_CI_CI
	.globl	bluestein_single_back_len128_dim1_half_op_CI_CI
	.p2align	8
	.type	bluestein_single_back_len128_dim1_half_op_CI_CI,@function
bluestein_single_back_len128_dim1_half_op_CI_CI: ; @bluestein_single_back_len128_dim1_half_op_CI_CI
; %bb.0:
	s_load_dwordx4 s[0:3], s[4:5], 0x28
	v_lshrrev_b32_e32 v1, 4, v0
	v_lshl_or_b32 v8, s6, 4, v1
	v_mov_b32_e32 v9, 0
	s_waitcnt lgkmcnt(0)
	v_cmp_gt_u64_e32 vcc, s[0:1], v[8:9]
	s_and_saveexec_b64 s[0:1], vcc
	s_cbranch_execz .LBB0_15
; %bb.1:
	s_load_dwordx2 s[6:7], s[4:5], 0x0
	s_load_dwordx2 s[12:13], s[4:5], 0x38
	v_and_b32_e32 v25, 15, v0
	v_lshlrev_b32_e32 v18, 7, v1
	v_cmp_gt_u32_e32 vcc, 8, v25
	v_lshlrev_b32_e32 v27, 2, v25
	v_or_b32_e32 v17, v18, v25
	v_or_b32_e32 v31, 8, v25
	v_add_lshl_u32 v26, v18, v25, 2
	v_or_b32_e32 v30, 24, v25
	v_or_b32_e32 v29, 40, v25
	;; [unrolled: 1-line block ×3, first 2 shown]
	s_and_saveexec_b64 s[14:15], vcc
	s_cbranch_execz .LBB0_3
; %bb.2:
	s_load_dwordx2 s[0:1], s[4:5], 0x18
	v_mov_b32_e32 v9, s3
	s_waitcnt lgkmcnt(0)
	global_load_dword v15, v27, s[6:7]
	s_load_dwordx4 s[8:11], s[0:1], 0x0
	s_waitcnt lgkmcnt(0)
	v_mad_u64_u32 v[0:1], s[0:1], s10, v8, 0
	v_mad_u64_u32 v[2:3], s[0:1], s8, v25, 0
	;; [unrolled: 1-line block ×5, first 2 shown]
	v_mov_b32_e32 v1, v4
	v_lshlrev_b64 v[0:1], 2, v[0:1]
	v_mov_b32_e32 v3, v5
	v_add_co_u32_e64 v13, s[0:1], s2, v0
	v_mov_b32_e32 v0, v7
	v_addc_co_u32_e64 v14, s[0:1], v9, v1, s[0:1]
	v_mad_u64_u32 v[0:1], s[0:1], s9, v31, v[0:1]
	v_lshlrev_b64 v[2:3], 2, v[2:3]
	s_lshl_b64 s[2:3], s[8:9], 6
	v_add_co_u32_e64 v1, s[0:1], v13, v2
	v_addc_co_u32_e64 v2, s[0:1], v14, v3, s[0:1]
	v_mov_b32_e32 v7, v0
	v_lshlrev_b64 v[3:4], 2, v[6:7]
	global_load_dword v16, v[1:2], off
	v_add_co_u32_e64 v3, s[0:1], v13, v3
	v_addc_co_u32_e64 v4, s[0:1], v14, v4, s[0:1]
	global_load_dword v19, v[3:4], off
	global_load_dword v20, v27, s[6:7] offset:32
	v_mov_b32_e32 v21, s3
	v_add_co_u32_e64 v0, s[0:1], s2, v1
	v_addc_co_u32_e64 v1, s[0:1], v2, v21, s[0:1]
	global_load_dword v22, v[0:1], off
	global_load_dword v23, v27, s[6:7] offset:64
	v_mad_u64_u32 v[2:3], s[0:1], s8, v30, 0
	v_mad_u64_u32 v[4:5], s[0:1], s8, v29, 0
	v_mad_u64_u32 v[6:7], s[0:1], s8, v28, 0
	v_mad_u64_u32 v[9:10], s[0:1], s9, v30, v[3:4]
	v_mad_u64_u32 v[10:11], s[0:1], s9, v29, v[5:6]
	v_mad_u64_u32 v[11:12], s[0:1], s9, v28, v[7:8]
	v_mov_b32_e32 v3, v9
	v_lshlrev_b64 v[2:3], 2, v[2:3]
	v_mov_b32_e32 v5, v10
	v_lshlrev_b64 v[4:5], 2, v[4:5]
	v_add_co_u32_e64 v2, s[0:1], v13, v2
	v_mov_b32_e32 v7, v11
	v_addc_co_u32_e64 v3, s[0:1], v14, v3, s[0:1]
	v_lshlrev_b64 v[6:7], 2, v[6:7]
	v_add_co_u32_e64 v4, s[0:1], v13, v4
	v_addc_co_u32_e64 v5, s[0:1], v14, v5, s[0:1]
	v_add_co_u32_e64 v6, s[0:1], v13, v6
	v_addc_co_u32_e64 v7, s[0:1], v14, v7, s[0:1]
	;; [unrolled: 2-line block ×3, first 2 shown]
	v_add_co_u32_e64 v9, s[0:1], s2, v0
	global_load_dword v24, v27, s[6:7] offset:96
	global_load_dword v32, v27, s[6:7] offset:128
	;; [unrolled: 1-line block ×5, first 2 shown]
	v_addc_co_u32_e64 v10, s[0:1], v1, v21, s[0:1]
	global_load_dword v11, v[2:3], off
	global_load_dword v36, v[0:1], off
	;; [unrolled: 1-line block ×5, first 2 shown]
	v_lshlrev_b32_e32 v12, 2, v17
	v_or_b32_e32 v6, 0x48, v25
	s_waitcnt vmcnt(14)
	v_lshrrev_b32_e32 v0, 16, v16
	v_mul_f16_sdwa v1, v15, v16 dst_sel:DWORD dst_unused:UNUSED_PAD src0_sel:WORD_1 src1_sel:DWORD
	v_fma_f16 v1, v15, v0, -v1
	v_mul_f16_sdwa v0, v15, v0 dst_sel:DWORD dst_unused:UNUSED_PAD src0_sel:WORD_1 src1_sel:DWORD
	v_fma_f16 v0, v15, v16, v0
	v_pack_b32_f16 v0, v0, v1
	s_waitcnt vmcnt(13)
	v_lshrrev_b32_e32 v2, 16, v19
	ds_write_b32 v12, v0
	s_waitcnt vmcnt(12)
	v_mul_f16_sdwa v0, v20, v19 dst_sel:DWORD dst_unused:UNUSED_PAD src0_sel:WORD_1 src1_sel:DWORD
	v_mul_f16_sdwa v3, v20, v2 dst_sel:DWORD dst_unused:UNUSED_PAD src0_sel:WORD_1 src1_sel:DWORD
	v_fma_f16 v2, v20, v2, -v0
	s_waitcnt vmcnt(11)
	v_lshrrev_b32_e32 v0, 16, v22
	s_waitcnt vmcnt(10)
	v_mul_f16_sdwa v1, v23, v0 dst_sel:DWORD dst_unused:UNUSED_PAD src0_sel:WORD_1 src1_sel:DWORD
	v_fma_f16 v4, v23, v22, v1
	v_mul_f16_sdwa v1, v23, v22 dst_sel:DWORD dst_unused:UNUSED_PAD src0_sel:WORD_1 src1_sel:DWORD
	v_fma_f16 v5, v23, v0, -v1
	v_mad_u64_u32 v[0:1], s[0:1], s8, v6, 0
	v_fma_f16 v3, v20, v19, v3
	v_pack_b32_f16 v2, v3, v2
	v_pack_b32_f16 v3, v4, v5
	ds_write2_b32 v26, v2, v3 offset0:8 offset1:16
	v_mad_u64_u32 v[1:2], s[0:1], s9, v6, v[1:2]
	v_add_co_u32_e64 v2, s[0:1], s2, v9
	v_or_b32_e32 v6, 0x58, v25
	v_addc_co_u32_e64 v3, s[0:1], v10, v21, s[0:1]
	v_mad_u64_u32 v[4:5], s[0:1], s8, v6, 0
	v_lshlrev_b64 v[0:1], 2, v[0:1]
	v_or_b32_e32 v9, 0x68, v25
	v_add_co_u32_e64 v0, s[0:1], v13, v0
	v_addc_co_u32_e64 v1, s[0:1], v14, v1, s[0:1]
	v_mad_u64_u32 v[5:6], s[0:1], s9, v6, v[5:6]
	v_mad_u64_u32 v[6:7], s[0:1], s8, v9, 0
	global_load_dword v12, v[2:3], off
	global_load_dword v15, v[0:1], off
	global_load_dword v16, v27, s[6:7] offset:256
	global_load_dword v20, v27, s[6:7] offset:288
	v_lshlrev_b64 v[0:1], 2, v[4:5]
	v_mov_b32_e32 v4, v7
	v_mad_u64_u32 v[4:5], s[0:1], s9, v9, v[4:5]
	v_add_co_u32_e64 v0, s[0:1], v13, v0
	v_or_b32_e32 v19, 0x78, v25
	v_addc_co_u32_e64 v1, s[0:1], v14, v1, s[0:1]
	v_mad_u64_u32 v[9:10], s[0:1], s8, v19, 0
	v_add_co_u32_e64 v2, s[0:1], s2, v2
	v_addc_co_u32_e64 v3, s[0:1], v3, v21, s[0:1]
	global_load_dword v22, v[2:3], off
	global_load_dword v23, v27, s[6:7] offset:320
	v_mov_b32_e32 v7, v4
	v_lshlrev_b64 v[4:5], 2, v[6:7]
	v_mov_b32_e32 v6, v10
	v_mad_u64_u32 v[6:7], s[0:1], s9, v19, v[6:7]
	global_load_dword v7, v[0:1], off
	global_load_dword v19, v27, s[6:7] offset:352
	v_add_co_u32_e64 v0, s[0:1], s2, v2
	v_addc_co_u32_e64 v1, s[0:1], v3, v21, s[0:1]
	global_load_dword v40, v[0:1], off
	global_load_dword v41, v27, s[6:7] offset:384
	v_add_co_u32_e64 v2, s[0:1], v13, v4
	v_addc_co_u32_e64 v3, s[0:1], v14, v5, s[0:1]
	;; [unrolled: 4-line block ×3, first 2 shown]
	v_mov_b32_e32 v10, v6
	global_load_dword v2, v[0:1], off
	global_load_dword v3, v27, s[6:7] offset:448
	v_lshlrev_b64 v[0:1], 2, v[9:10]
	s_waitcnt vmcnt(18)
	v_mul_f16_sdwa v10, v24, v11 dst_sel:DWORD dst_unused:UNUSED_PAD src0_sel:WORD_1 src1_sel:DWORD
	v_add_co_u32_e64 v0, s[0:1], v13, v0
	v_addc_co_u32_e64 v1, s[0:1], v14, v1, s[0:1]
	global_load_dword v6, v[0:1], off
	global_load_dword v9, v27, s[6:7] offset:480
	v_lshrrev_b32_e32 v0, 16, v11
	v_mul_f16_sdwa v1, v24, v0 dst_sel:DWORD dst_unused:UNUSED_PAD src0_sel:WORD_1 src1_sel:DWORD
	v_fma_f16 v1, v24, v11, v1
	v_fma_f16 v0, v24, v0, -v10
	v_pack_b32_f16 v0, v1, v0
	s_waitcnt vmcnt(19)
	v_lshrrev_b32_e32 v1, 16, v36
	v_mul_f16_sdwa v10, v32, v1 dst_sel:DWORD dst_unused:UNUSED_PAD src0_sel:WORD_1 src1_sel:DWORD
	v_mul_f16_sdwa v11, v32, v36 dst_sel:DWORD dst_unused:UNUSED_PAD src0_sel:WORD_1 src1_sel:DWORD
	v_fma_f16 v10, v32, v36, v10
	v_fma_f16 v1, v32, v1, -v11
	v_pack_b32_f16 v1, v10, v1
	ds_write2_b32 v26, v0, v1 offset0:24 offset1:32
	s_waitcnt vmcnt(18)
	v_lshrrev_b32_e32 v0, 16, v37
	v_mul_f16_sdwa v1, v33, v0 dst_sel:DWORD dst_unused:UNUSED_PAD src0_sel:WORD_1 src1_sel:DWORD
	v_mul_f16_sdwa v10, v33, v37 dst_sel:DWORD dst_unused:UNUSED_PAD src0_sel:WORD_1 src1_sel:DWORD
	v_fma_f16 v1, v33, v37, v1
	v_fma_f16 v0, v33, v0, -v10
	v_pack_b32_f16 v0, v1, v0
	s_waitcnt vmcnt(16)
	v_lshrrev_b32_e32 v1, 16, v39
	v_mul_f16_sdwa v10, v34, v1 dst_sel:DWORD dst_unused:UNUSED_PAD src0_sel:WORD_1 src1_sel:DWORD
	v_mul_f16_sdwa v11, v34, v39 dst_sel:DWORD dst_unused:UNUSED_PAD src0_sel:WORD_1 src1_sel:DWORD
	v_fma_f16 v10, v34, v39, v10
	v_fma_f16 v1, v34, v1, -v11
	v_pack_b32_f16 v1, v10, v1
	ds_write2_b32 v26, v0, v1 offset0:40 offset1:48
	v_lshrrev_b32_e32 v0, 16, v38
	v_mul_f16_sdwa v10, v35, v38 dst_sel:DWORD dst_unused:UNUSED_PAD src0_sel:WORD_1 src1_sel:DWORD
	v_mul_f16_sdwa v1, v35, v0 dst_sel:DWORD dst_unused:UNUSED_PAD src0_sel:WORD_1 src1_sel:DWORD
	v_fma_f16 v0, v35, v0, -v10
	v_fma_f16 v1, v35, v38, v1
	v_pack_b32_f16 v0, v1, v0
	s_waitcnt vmcnt(15)
	v_lshrrev_b32_e32 v10, 16, v12
	s_waitcnt vmcnt(13)
	v_mul_f16_sdwa v11, v16, v10 dst_sel:DWORD dst_unused:UNUSED_PAD src0_sel:WORD_1 src1_sel:DWORD
	v_fma_f16 v11, v16, v12, v11
	v_mul_f16_sdwa v12, v16, v12 dst_sel:DWORD dst_unused:UNUSED_PAD src0_sel:WORD_1 src1_sel:DWORD
	v_fma_f16 v10, v16, v10, -v12
	v_pack_b32_f16 v1, v11, v10
	ds_write2_b32 v26, v0, v1 offset0:56 offset1:64
	v_lshrrev_b32_e32 v0, 16, v15
	s_waitcnt vmcnt(12)
	v_mul_f16_sdwa v1, v20, v0 dst_sel:DWORD dst_unused:UNUSED_PAD src0_sel:WORD_1 src1_sel:DWORD
	v_mul_f16_sdwa v10, v20, v15 dst_sel:DWORD dst_unused:UNUSED_PAD src0_sel:WORD_1 src1_sel:DWORD
	v_fma_f16 v1, v20, v15, v1
	v_fma_f16 v0, v20, v0, -v10
	v_pack_b32_f16 v0, v1, v0
	s_waitcnt vmcnt(11)
	v_lshrrev_b32_e32 v1, 16, v22
	s_waitcnt vmcnt(10)
	v_mul_f16_sdwa v10, v23, v1 dst_sel:DWORD dst_unused:UNUSED_PAD src0_sel:WORD_1 src1_sel:DWORD
	v_mul_f16_sdwa v11, v23, v22 dst_sel:DWORD dst_unused:UNUSED_PAD src0_sel:WORD_1 src1_sel:DWORD
	v_fma_f16 v10, v23, v22, v10
	v_fma_f16 v1, v23, v1, -v11
	v_pack_b32_f16 v1, v10, v1
	ds_write2_b32 v26, v0, v1 offset0:72 offset1:80
	s_waitcnt vmcnt(9)
	v_lshrrev_b32_e32 v0, 16, v7
	s_waitcnt vmcnt(8)
	v_mul_f16_sdwa v1, v19, v0 dst_sel:DWORD dst_unused:UNUSED_PAD src0_sel:WORD_1 src1_sel:DWORD
	v_fma_f16 v1, v19, v7, v1
	v_mul_f16_sdwa v7, v19, v7 dst_sel:DWORD dst_unused:UNUSED_PAD src0_sel:WORD_1 src1_sel:DWORD
	v_fma_f16 v0, v19, v0, -v7
	v_pack_b32_f16 v0, v1, v0
	s_waitcnt vmcnt(7)
	v_lshrrev_b32_e32 v1, 16, v40
	s_waitcnt vmcnt(6)
	v_mul_f16_sdwa v7, v41, v1 dst_sel:DWORD dst_unused:UNUSED_PAD src0_sel:WORD_1 src1_sel:DWORD
	v_mul_f16_sdwa v10, v41, v40 dst_sel:DWORD dst_unused:UNUSED_PAD src0_sel:WORD_1 src1_sel:DWORD
	v_fma_f16 v7, v41, v40, v7
	v_fma_f16 v1, v41, v1, -v10
	v_pack_b32_f16 v1, v7, v1
	ds_write2_b32 v26, v0, v1 offset0:88 offset1:96
	s_waitcnt vmcnt(5)
	v_lshrrev_b32_e32 v0, 16, v4
	s_waitcnt vmcnt(4)
	v_mul_f16_sdwa v1, v5, v0 dst_sel:DWORD dst_unused:UNUSED_PAD src0_sel:WORD_1 src1_sel:DWORD
	v_fma_f16 v1, v5, v4, v1
	v_mul_f16_sdwa v4, v5, v4 dst_sel:DWORD dst_unused:UNUSED_PAD src0_sel:WORD_1 src1_sel:DWORD
	v_fma_f16 v0, v5, v0, -v4
	v_pack_b32_f16 v0, v1, v0
	s_waitcnt vmcnt(3)
	v_lshrrev_b32_e32 v1, 16, v2
	s_waitcnt vmcnt(2)
	v_mul_f16_sdwa v4, v3, v1 dst_sel:DWORD dst_unused:UNUSED_PAD src0_sel:WORD_1 src1_sel:DWORD
	v_fma_f16 v4, v3, v2, v4
	v_mul_f16_sdwa v2, v3, v2 dst_sel:DWORD dst_unused:UNUSED_PAD src0_sel:WORD_1 src1_sel:DWORD
	v_fma_f16 v1, v3, v1, -v2
	v_pack_b32_f16 v1, v4, v1
	ds_write2_b32 v26, v0, v1 offset0:104 offset1:112
	s_waitcnt vmcnt(1)
	v_lshrrev_b32_e32 v0, 16, v6
	s_waitcnt vmcnt(0)
	v_mul_f16_sdwa v1, v9, v0 dst_sel:DWORD dst_unused:UNUSED_PAD src0_sel:WORD_1 src1_sel:DWORD
	v_mul_f16_sdwa v2, v9, v6 dst_sel:DWORD dst_unused:UNUSED_PAD src0_sel:WORD_1 src1_sel:DWORD
	v_fma_f16 v1, v9, v6, v1
	v_fma_f16 v0, v9, v0, -v2
	v_pack_b32_f16 v0, v1, v0
	ds_write_b32 v26, v0 offset:480
.LBB0_3:
	s_or_b64 exec, exec, s[14:15]
	s_load_dwordx2 s[0:1], s[4:5], 0x20
	s_load_dwordx2 s[8:9], s[4:5], 0x8
	s_waitcnt lgkmcnt(0)
	s_barrier
	s_waitcnt lgkmcnt(0)
                                        ; implicit-def: $vgpr6
                                        ; implicit-def: $vgpr9
                                        ; implicit-def: $vgpr2
                                        ; implicit-def: $vgpr13
                                        ; implicit-def: $vgpr0
                                        ; implicit-def: $vgpr11
                                        ; implicit-def: $vgpr4
                                        ; implicit-def: $vgpr15
	s_and_saveexec_b64 s[2:3], vcc
	s_cbranch_execz .LBB0_5
; %bb.4:
	v_lshlrev_b32_e32 v15, 2, v17
	ds_read2_b32 v[6:7], v15 offset1:8
	ds_read2_b32 v[0:1], v15 offset0:16 offset1:24
	ds_read2_b32 v[2:3], v15 offset0:32 offset1:40
	;; [unrolled: 1-line block ×7, first 2 shown]
.LBB0_5:
	s_or_b64 exec, exec, s[2:3]
	s_waitcnt lgkmcnt(3)
	v_pk_add_f16 v9, v6, v9 neg_lo:[0,1] neg_hi:[0,1]
	s_waitcnt lgkmcnt(1)
	v_pk_add_f16 v13, v2, v13 neg_lo:[0,1] neg_hi:[0,1]
	v_lshrrev_b32_e32 v19, 16, v9
	v_pk_add_f16 v11, v0, v11 neg_lo:[0,1] neg_hi:[0,1]
	v_add_f16_e32 v22, v13, v19
	s_waitcnt lgkmcnt(0)
	v_pk_add_f16 v15, v4, v15 neg_lo:[0,1] neg_hi:[0,1]
	v_fma_f16 v24, v19, 2.0, -v22
	v_lshrrev_b32_e32 v19, 16, v11
	v_pk_add_f16 v10, v7, v10 neg_lo:[0,1] neg_hi:[0,1]
	v_add_f16_e32 v33, v15, v19
	v_pk_add_f16 v14, v3, v14 neg_lo:[0,1] neg_hi:[0,1]
	v_fma_f16 v34, v19, 2.0, -v33
	v_lshrrev_b32_e32 v19, 16, v10
	v_pk_add_f16 v12, v1, v12 neg_lo:[0,1] neg_hi:[0,1]
	v_sub_f16_sdwa v21, v9, v13 dst_sel:DWORD dst_unused:UNUSED_PAD src0_sel:DWORD src1_sel:WORD_1
	v_sub_f16_sdwa v32, v11, v15 dst_sel:DWORD dst_unused:UNUSED_PAD src0_sel:DWORD src1_sel:WORD_1
	v_add_f16_e32 v36, v14, v19
	v_pk_add_f16 v16, v5, v16 neg_lo:[0,1] neg_hi:[0,1]
	v_fma_f16 v23, v9, 2.0, -v21
	v_fma_f16 v20, v11, 2.0, -v32
	;; [unrolled: 1-line block ×3, first 2 shown]
	v_lshrrev_b32_e32 v19, 16, v12
	s_mov_b32 s4, 0xb9a8
	v_sub_f16_sdwa v35, v10, v14 dst_sel:DWORD dst_unused:UNUSED_PAD src0_sel:DWORD src1_sel:WORD_1
	v_add_f16_e32 v40, v16, v19
	v_pk_fma_f16 v9, v6, 2.0, v9 op_sel_hi:[1,0,1] neg_lo:[0,0,1] neg_hi:[0,0,1]
	v_fma_f16 v6, v20, s4, v23
	v_fma_f16 v37, v10, 2.0, -v35
	v_sub_f16_sdwa v39, v12, v16 dst_sel:DWORD dst_unused:UNUSED_PAD src0_sel:DWORD src1_sel:WORD_1
	v_pk_fma_f16 v10, v7, 2.0, v10 op_sel_hi:[1,0,1] neg_lo:[0,0,1] neg_hi:[0,0,1]
	v_fma_f16 v42, v19, 2.0, -v40
	v_fma_f16 v19, v34, s4, v6
	v_fma_f16 v6, v34, s4, v24
	s_movk_i32 s5, 0x39a8
	v_pk_fma_f16 v2, v2, 2.0, v13 op_sel_hi:[1,0,1] neg_lo:[0,0,1] neg_hi:[0,0,1]
	v_pk_fma_f16 v0, v0, 2.0, v11 op_sel_hi:[1,0,1] neg_lo:[0,0,1] neg_hi:[0,0,1]
	v_pk_fma_f16 v4, v4, 2.0, v15 op_sel_hi:[1,0,1] neg_lo:[0,0,1] neg_hi:[0,0,1]
	v_pk_fma_f16 v3, v3, 2.0, v14 op_sel_hi:[1,0,1] neg_lo:[0,0,1] neg_hi:[0,0,1]
	v_pk_fma_f16 v1, v1, 2.0, v12 op_sel_hi:[1,0,1] neg_lo:[0,0,1] neg_hi:[0,0,1]
	v_pk_fma_f16 v5, v5, 2.0, v16 op_sel_hi:[1,0,1] neg_lo:[0,0,1] neg_hi:[0,0,1]
	v_fma_f16 v41, v12, 2.0, -v39
	v_fma_f16 v20, v20, s5, v6
	v_pk_add_f16 v2, v9, v2 neg_lo:[0,1] neg_hi:[0,1]
	v_pk_add_f16 v4, v0, v4 neg_lo:[0,1] neg_hi:[0,1]
	;; [unrolled: 1-line block ×4, first 2 shown]
	v_fma_f16 v7, v24, 2.0, -v20
	v_fma_f16 v24, v33, s5, v22
	v_pk_fma_f16 v9, v9, 2.0, v2 op_sel_hi:[1,0,1] neg_lo:[0,0,1] neg_hi:[0,0,1]
	v_pk_fma_f16 v0, v0, 2.0, v4 op_sel_hi:[1,0,1] neg_lo:[0,0,1] neg_hi:[0,0,1]
	;; [unrolled: 1-line block ×4, first 2 shown]
	v_lshrrev_b32_e32 v3, 16, v2
	v_fma_f16 v6, v23, 2.0, -v19
	v_fma_f16 v23, v32, s5, v21
	v_fma_f16 v24, v32, s5, v24
	v_pk_add_f16 v0, v9, v0 neg_lo:[0,1] neg_hi:[0,1]
	v_sub_f16_sdwa v5, v2, v4 dst_sel:DWORD dst_unused:UNUSED_PAD src0_sel:DWORD src1_sel:WORD_1
	v_add_f16_e32 v32, v4, v3
	v_pk_add_f16 v4, v10, v13 neg_lo:[0,1] neg_hi:[0,1]
	v_lshrrev_b32_e32 v15, 16, v11
	v_fma_f16 v23, v33, s4, v23
	v_pk_fma_f16 v1, v9, 2.0, v0 op_sel_hi:[1,0,1] neg_lo:[0,0,1] neg_hi:[0,0,1]
	v_pk_fma_f16 v43, v10, 2.0, v4 op_sel_hi:[1,0,1] neg_lo:[0,0,1] neg_hi:[0,0,1]
	v_fma_f16 v9, v41, s4, v37
	v_fma_f16 v10, v42, s4, v38
	v_sub_f16_sdwa v16, v11, v12 dst_sel:DWORD dst_unused:UNUSED_PAD src0_sel:DWORD src1_sel:WORD_1
	v_add_f16_e32 v33, v12, v15
	v_fma_f16 v9, v42, s4, v9
	v_fma_f16 v13, v41, s5, v10
	v_fma_f16 v12, v11, 2.0, -v16
	v_fma_f16 v11, v15, 2.0, -v33
	v_fma_f16 v15, v39, s5, v35
	v_fma_f16 v34, v40, s5, v36
	v_fma_f16 v14, v37, 2.0, -v9
	v_fma_f16 v10, v38, 2.0, -v13
	v_fma_f16 v38, v40, s4, v15
	v_fma_f16 v40, v39, s5, v34
	s_mov_b32 s2, 0xbb64
	v_fma_f16 v2, v2, 2.0, -v5
	v_fma_f16 v3, v3, 2.0, -v32
	;; [unrolled: 1-line block ×4, first 2 shown]
	v_fma_f16 v34, v14, s2, v6
	v_fma_f16 v36, v10, s2, v7
	s_mov_b32 s3, 0xb61f
	s_movk_i32 s10, 0x361f
	v_fma_f16 v21, v21, 2.0, -v23
	v_fma_f16 v22, v22, 2.0, -v24
	v_fma_f16 v10, v10, s3, v34
	v_fma_f16 v34, v14, s10, v36
	;; [unrolled: 1-line block ×8, first 2 shown]
	s_movk_i32 s11, 0x3b64
	v_fma_f16 v12, v35, s2, v12
	v_fma_f16 v35, v15, s11, v14
	;; [unrolled: 1-line block ×12, first 2 shown]
	v_pk_add_f16 v13, v0, v4 op_sel:[0,1] op_sel_hi:[1,0] neg_lo:[0,1] neg_hi:[0,1]
	v_pk_add_f16 v9, v0, v4 op_sel:[0,1] op_sel_hi:[1,0]
	v_fma_f16 v4, v40, s11, v24
	v_fma_f16 v38, v38, s10, v4
	v_lshlrev_b32_e32 v33, 2, v18
	v_pk_add_f16 v4, v1, v43 neg_lo:[0,1] neg_hi:[0,1]
	s_barrier
	s_and_saveexec_b64 s[2:3], vcc
	s_cbranch_execz .LBB0_7
; %bb.6:
	s_mov_b32 s10, 0xffff
	v_fma_f16 v41, v20, 2.0, -v36
	v_fma_f16 v20, v21, 2.0, -v12
	;; [unrolled: 1-line block ×7, first 2 shown]
	v_bfi_b32 v18, s10, v13, v9
	v_fma_f16 v23, v23, 2.0, -v16
	v_fma_f16 v24, v24, 2.0, -v38
	;; [unrolled: 1-line block ×5, first 2 shown]
	v_lshl_or_b32 v42, v25, 6, v33
	v_pk_fma_f16 v19, v1, 2.0, v4 op_sel_hi:[1,0,1] neg_lo:[0,0,1] neg_hi:[0,0,1]
	v_pack_b32_f16 v22, v20, v21
	v_pack_b32_f16 v21, v2, v3
	;; [unrolled: 1-line block ×3, first 2 shown]
	s_mov_b32 s10, 0x5040100
	ds_write_b128 v42, v[19:22]
	v_pk_fma_f16 v0, v0, 2.0, v18 op_sel_hi:[1,0,1] neg_lo:[0,0,1] neg_hi:[0,0,1]
	v_pack_b32_f16 v3, v23, v24
	v_pack_b32_f16 v2, v5, v32
	;; [unrolled: 1-line block ×3, first 2 shown]
	v_perm_b32 v7, v35, v12, s10
	v_perm_b32 v6, v37, v11, s10
	;; [unrolled: 1-line block ×6, first 2 shown]
	ds_write_b128 v42, v[0:3] offset:16
	ds_write_b128 v42, v[4:7] offset:32
	;; [unrolled: 1-line block ×3, first 2 shown]
.LBB0_7:
	s_or_b64 exec, exec, s[2:3]
	v_mad_u64_u32 v[18:19], s[8:9], v25, 28, s[8:9]
	s_load_dwordx4 s[0:3], s[0:1], 0x0
	s_waitcnt lgkmcnt(0)
	s_barrier
	global_load_dwordx4 v[0:3], v[18:19], off
	global_load_dwordx3 v[5:7], v[18:19], off offset:16
	v_lshlrev_b32_e32 v32, 2, v17
	ds_read2_b32 v[17:18], v32 offset1:16
	ds_read2_b32 v[19:20], v32 offset0:32 offset1:48
	ds_read2_b32 v[21:22], v32 offset0:64 offset1:80
	;; [unrolled: 1-line block ×3, first 2 shown]
	s_waitcnt lgkmcnt(3)
	v_lshrrev_b32_e32 v41, 16, v18
	s_waitcnt lgkmcnt(2)
	v_lshrrev_b32_e32 v42, 16, v19
	v_lshrrev_b32_e32 v43, 16, v20
	s_waitcnt lgkmcnt(1)
	v_lshrrev_b32_e32 v44, 16, v21
	;; [unrolled: 3-line block ×3, first 2 shown]
	v_lshrrev_b32_e32 v47, 16, v24
	v_lshrrev_b32_e32 v40, 16, v17
	s_waitcnt vmcnt(1)
	v_mul_f16_sdwa v48, v41, v0 dst_sel:DWORD dst_unused:UNUSED_PAD src0_sel:DWORD src1_sel:WORD_1
	v_mul_f16_sdwa v49, v18, v0 dst_sel:DWORD dst_unused:UNUSED_PAD src0_sel:DWORD src1_sel:WORD_1
	;; [unrolled: 1-line block ×8, first 2 shown]
	s_waitcnt vmcnt(0)
	v_mul_f16_sdwa v56, v45, v5 dst_sel:DWORD dst_unused:UNUSED_PAD src0_sel:DWORD src1_sel:WORD_1
	v_mul_f16_sdwa v57, v22, v5 dst_sel:DWORD dst_unused:UNUSED_PAD src0_sel:DWORD src1_sel:WORD_1
	;; [unrolled: 1-line block ×6, first 2 shown]
	v_fma_f16 v18, v18, v0, -v48
	v_fma_f16 v41, v41, v0, v49
	v_fma_f16 v19, v19, v1, -v50
	v_fma_f16 v42, v42, v1, v51
	;; [unrolled: 2-line block ×7, first 2 shown]
	v_sub_f16_e32 v21, v17, v21
	v_sub_f16_e32 v44, v40, v44
	;; [unrolled: 1-line block ×8, first 2 shown]
	v_fma_f16 v40, v40, 2.0, -v44
	v_fma_f16 v42, v42, 2.0, -v46
	v_sub_f16_e32 v48, v21, v46
	v_add_f16_e32 v49, v44, v23
	v_sub_f16_e32 v46, v22, v47
	v_add_f16_e32 v50, v45, v24
	v_fma_f16 v17, v17, 2.0, -v21
	v_fma_f16 v19, v19, 2.0, -v23
	;; [unrolled: 1-line block ×6, first 2 shown]
	v_sub_f16_e32 v51, v40, v42
	v_fma_f16 v42, v21, 2.0, -v48
	v_fma_f16 v44, v44, 2.0, -v49
	;; [unrolled: 1-line block ×4, first 2 shown]
	v_sub_f16_e32 v19, v17, v19
	v_sub_f16_e32 v20, v18, v20
	v_sub_f16_e32 v21, v41, v43
	v_fma_f16 v43, v22, s4, v42
	v_fma_f16 v45, v24, s4, v44
	v_fma_f16 v17, v17, 2.0, -v19
	v_fma_f16 v40, v40, 2.0, -v51
	;; [unrolled: 1-line block ×4, first 2 shown]
	v_fma_f16 v24, v24, s4, v43
	v_fma_f16 v43, v22, s5, v45
	v_sub_f16_e32 v23, v17, v18
	v_sub_f16_e32 v41, v40, v41
	v_fma_f16 v18, v42, 2.0, -v24
	v_fma_f16 v42, v44, 2.0, -v43
	v_add_f16_e32 v47, v51, v20
	v_fma_f16 v20, v46, s5, v48
	v_fma_f16 v44, v50, s5, v49
	v_sub_f16_e32 v21, v19, v21
	v_fma_f16 v17, v17, 2.0, -v23
	v_fma_f16 v40, v40, 2.0, -v41
	v_fma_f16 v22, v50, s4, v20
	v_fma_f16 v46, v46, s5, v44
	v_fma_f16 v19, v19, 2.0, -v21
	v_fma_f16 v45, v51, 2.0, -v47
	;; [unrolled: 1-line block ×4, first 2 shown]
	v_pack_b32_f16 v48, v17, v40
	v_pack_b32_f16 v49, v18, v42
	ds_write2_b32 v32, v48, v49 offset1:16
	v_pack_b32_f16 v48, v19, v45
	v_pack_b32_f16 v49, v20, v44
	ds_write2_b32 v32, v48, v49 offset0:32 offset1:48
	v_pack_b32_f16 v48, v23, v41
	v_pack_b32_f16 v49, v24, v43
	ds_write2_b32 v32, v48, v49 offset0:64 offset1:80
	;; [unrolled: 3-line block ×3, first 2 shown]
	s_waitcnt lgkmcnt(0)
	s_barrier
	s_and_saveexec_b64 s[4:5], vcc
	s_cbranch_execz .LBB0_9
; %bb.8:
	global_load_dword v50, v27, s[6:7] offset:512
	ds_read_b32 v48, v32
	s_add_u32 s8, s6, 0x200
	s_addc_u32 s9, s7, 0
	s_waitcnt lgkmcnt(0)
	v_lshrrev_b32_e32 v49, 16, v48
	s_waitcnt vmcnt(0)
	v_mul_f16_sdwa v51, v49, v50 dst_sel:DWORD dst_unused:UNUSED_PAD src0_sel:DWORD src1_sel:WORD_1
	v_fma_f16 v51, v48, v50, -v51
	v_mul_f16_sdwa v48, v48, v50 dst_sel:DWORD dst_unused:UNUSED_PAD src0_sel:DWORD src1_sel:WORD_1
	v_fma_f16 v48, v49, v50, v48
	v_pack_b32_f16 v48, v51, v48
	global_load_dword v51, v27, s[8:9] offset:32
	ds_write_b32 v32, v48
	ds_read2_b32 v[48:49], v26 offset0:8 offset1:16
	s_waitcnt lgkmcnt(0)
	v_lshrrev_b32_e32 v50, 16, v48
	s_waitcnt vmcnt(0)
	v_mul_f16_sdwa v52, v50, v51 dst_sel:DWORD dst_unused:UNUSED_PAD src0_sel:DWORD src1_sel:WORD_1
	v_fma_f16 v52, v48, v51, -v52
	v_mul_f16_sdwa v48, v48, v51 dst_sel:DWORD dst_unused:UNUSED_PAD src0_sel:DWORD src1_sel:WORD_1
	v_fma_f16 v48, v50, v51, v48
	global_load_dword v51, v27, s[8:9] offset:64
	v_lshrrev_b32_e32 v50, 16, v49
	v_pack_b32_f16 v48, v52, v48
	s_waitcnt vmcnt(0)
	v_mul_f16_sdwa v52, v50, v51 dst_sel:DWORD dst_unused:UNUSED_PAD src0_sel:DWORD src1_sel:WORD_1
	v_fma_f16 v52, v49, v51, -v52
	v_mul_f16_sdwa v49, v49, v51 dst_sel:DWORD dst_unused:UNUSED_PAD src0_sel:DWORD src1_sel:WORD_1
	v_fma_f16 v49, v50, v51, v49
	global_load_dword v51, v27, s[8:9] offset:96
	v_pack_b32_f16 v49, v52, v49
	ds_write2_b32 v26, v48, v49 offset0:8 offset1:16
	ds_read2_b32 v[48:49], v26 offset0:24 offset1:32
	s_waitcnt lgkmcnt(0)
	v_lshrrev_b32_e32 v50, 16, v48
	s_waitcnt vmcnt(0)
	v_mul_f16_sdwa v52, v50, v51 dst_sel:DWORD dst_unused:UNUSED_PAD src0_sel:DWORD src1_sel:WORD_1
	v_fma_f16 v52, v48, v51, -v52
	v_mul_f16_sdwa v48, v48, v51 dst_sel:DWORD dst_unused:UNUSED_PAD src0_sel:DWORD src1_sel:WORD_1
	v_fma_f16 v48, v50, v51, v48
	global_load_dword v51, v27, s[8:9] offset:128
	v_lshrrev_b32_e32 v50, 16, v49
	v_pack_b32_f16 v48, v52, v48
	s_waitcnt vmcnt(0)
	v_mul_f16_sdwa v52, v50, v51 dst_sel:DWORD dst_unused:UNUSED_PAD src0_sel:DWORD src1_sel:WORD_1
	v_fma_f16 v52, v49, v51, -v52
	v_mul_f16_sdwa v49, v49, v51 dst_sel:DWORD dst_unused:UNUSED_PAD src0_sel:DWORD src1_sel:WORD_1
	v_fma_f16 v49, v50, v51, v49
	global_load_dword v51, v27, s[8:9] offset:160
	v_pack_b32_f16 v49, v52, v49
	ds_write2_b32 v26, v48, v49 offset0:24 offset1:32
	;; [unrolled: 19-line block ×7, first 2 shown]
	ds_read_b32 v48, v26 offset:480
	s_waitcnt lgkmcnt(0)
	v_lshrrev_b32_e32 v49, 16, v48
	s_waitcnt vmcnt(0)
	v_mul_f16_sdwa v51, v49, v50 dst_sel:DWORD dst_unused:UNUSED_PAD src0_sel:DWORD src1_sel:WORD_1
	v_fma_f16 v51, v48, v50, -v51
	v_mul_f16_sdwa v48, v48, v50 dst_sel:DWORD dst_unused:UNUSED_PAD src0_sel:DWORD src1_sel:WORD_1
	v_fma_f16 v48, v49, v50, v48
	v_pack_b32_f16 v48, v51, v48
	ds_write_b32 v26, v48 offset:480
.LBB0_9:
	s_or_b64 exec, exec, s[4:5]
	v_lshrrev_b32_e32 v48, 16, v9
	s_waitcnt lgkmcnt(0)
	s_barrier
	s_and_saveexec_b64 s[4:5], vcc
	s_cbranch_execz .LBB0_11
; %bb.10:
	ds_read2_b32 v[17:18], v32 offset1:8
	ds_read2_b32 v[19:20], v32 offset0:16 offset1:24
	ds_read2_b32 v[23:24], v32 offset0:32 offset1:40
	;; [unrolled: 1-line block ×7, first 2 shown]
	s_waitcnt lgkmcnt(7)
	v_lshrrev_b32_e32 v40, 16, v17
	v_lshrrev_b32_e32 v42, 16, v18
	s_waitcnt lgkmcnt(6)
	v_lshrrev_b32_e32 v45, 16, v19
	v_lshrrev_b32_e32 v44, 16, v20
	;; [unrolled: 3-line block ×4, first 2 shown]
	s_waitcnt lgkmcnt(3)
	v_lshrrev_b32_e32 v34, 16, v10
	s_waitcnt lgkmcnt(2)
	v_lshrrev_b32_e32 v37, 16, v11
	v_lshrrev_b32_e32 v35, 16, v12
	s_waitcnt lgkmcnt(1)
	v_lshrrev_b32_e32 v48, 16, v13
	v_lshrrev_b32_e32 v36, 16, v14
	s_waitcnt lgkmcnt(0)
	v_lshrrev_b32_e32 v39, 16, v15
	v_lshrrev_b32_e32 v38, 16, v16
	v_mov_b32_e32 v4, v9
.LBB0_11:
	s_or_b64 exec, exec, s[4:5]
	s_barrier
	s_and_saveexec_b64 s[4:5], vcc
	s_cbranch_execz .LBB0_13
; %bb.12:
	v_sub_f16_e32 v39, v47, v39
	v_sub_f16_e32 v11, v19, v11
	;; [unrolled: 1-line block ×6, first 2 shown]
	v_add_f16_e32 v49, v39, v11
	v_add_f16_e32 v51, v48, v50
	s_movk_i32 s8, 0x39a8
	v_sub_f16_sdwa v4, v40, v4 dst_sel:DWORD dst_unused:UNUSED_PAD src0_sel:DWORD src1_sel:WORD_1
	v_sub_f16_e32 v13, v23, v13
	v_sub_f16_e32 v37, v9, v15
	v_fma_f16 v52, v49, s8, v51
	v_sub_f16_e32 v35, v44, v35
	v_sub_f16_e32 v16, v22, v16
	;; [unrolled: 1-line block ×5, first 2 shown]
	v_fma_f16 v52, v37, s8, v52
	v_sub_f16_e32 v53, v35, v16
	v_sub_f16_e32 v54, v34, v14
	;; [unrolled: 1-line block ×4, first 2 shown]
	s_mov_b32 s9, 0xb9a8
	v_sub_f16_e32 v36, v43, v36
	v_sub_f16_e32 v10, v18, v10
	v_fma_f16 v62, v37, s8, v61
	v_fma_f16 v45, v45, 2.0, -v9
	v_fma_f16 v19, v19, 2.0, -v11
	;; [unrolled: 1-line block ×5, first 2 shown]
	v_add_f16_e32 v56, v38, v12
	v_add_f16_e32 v57, v36, v10
	v_fma_f16 v62, v49, s9, v62
	v_fma_f16 v39, v47, 2.0, -v39
	v_fma_f16 v17, v17, 2.0, -v50
	;; [unrolled: 1-line block ×14, first 2 shown]
	v_fma_f16 v49, v11, s9, v37
	v_fma_f16 v34, v34, 2.0, -v54
	v_fma_f16 v35, v35, 2.0, -v53
	;; [unrolled: 1-line block ×3, first 2 shown]
	v_sub_f16_e32 v39, v45, v39
	v_sub_f16_e32 v13, v17, v13
	;; [unrolled: 1-line block ×8, first 2 shown]
	v_fma_f16 v49, v9, s8, v49
	v_fma_f16 v50, v35, s9, v34
	v_fma_f16 v12, v12, 2.0, -v56
	v_fma_f16 v10, v10, 2.0, -v57
	v_fma_f16 v9, v9, s9, v4
	s_movk_i32 s11, 0x361f
	v_add_f16_e32 v23, v39, v13
	v_sub_f16_e32 v22, v36, v16
	v_add_f16_e32 v24, v38, v14
	v_sub_f16_e32 v21, v41, v15
	v_fma_f16 v50, v12, s9, v50
	v_fma_f16 v12, v12, s9, v10
	;; [unrolled: 1-line block ×8, first 2 shown]
	s_mov_b32 s15, 0xbb64
	v_fma_f16 v55, v56, s9, v55
	v_fma_f16 v58, v56, s8, v57
	;; [unrolled: 1-line block ×5, first 2 shown]
	v_fma_f16 v11, v17, 2.0, -v13
	v_fma_f16 v18, v18, 2.0, -v14
	;; [unrolled: 1-line block ×4, first 2 shown]
	v_fma_f16 v58, v53, s8, v58
	s_movk_i32 s10, 0x3b64
	v_fma_f16 v46, v23, 2.0, -v44
	v_fma_f16 v48, v21, 2.0, -v47
	;; [unrolled: 1-line block ×3, first 2 shown]
	v_fma_f16 v23, v14, s9, v13
	v_fma_f16 v21, v41, 2.0, -v21
	v_fma_f16 v59, v58, s10, v52
	v_fma_f16 v23, v22, s8, v23
	;; [unrolled: 1-line block ×4, first 2 shown]
	v_fma_f16 v15, v19, 2.0, -v15
	v_fma_f16 v17, v42, 2.0, -v36
	;; [unrolled: 1-line block ×4, first 2 shown]
	v_fma_f16 v14, v14, s9, v22
	v_fma_f16 v22, v37, 2.0, -v49
	v_fma_f16 v24, v34, 2.0, -v50
	;; [unrolled: 1-line block ×5, first 2 shown]
	s_mov_b32 s14, 0xb61f
	v_fma_f16 v35, v12, s11, v49
	v_fma_f16 v65, v9, 2.0, -v56
	v_sub_f16_e32 v15, v11, v15
	v_sub_f16_e32 v19, v17, v19
	v_fma_f16 v40, v40, 2.0, -v41
	v_fma_f16 v39, v45, 2.0, -v39
	v_sub_f16_e32 v16, v18, v16
	v_fma_f16 v45, v51, 2.0, -v52
	v_fma_f16 v52, v57, 2.0, -v58
	v_fma_f16 v12, v10, s15, v22
	v_fma_f16 v9, v24, s15, v4
	v_fma_f16 v63, v55, s10, v62
	v_add_f16_e32 v38, v19, v15
	v_sub_f16_e32 v39, v40, v39
	v_fma_f16 v51, v54, 2.0, -v55
	v_fma_f16 v54, v52, s14, v45
	v_fma_f16 v55, v61, 2.0, -v62
	v_fma_f16 v34, v24, s11, v12
	v_fma_f16 v24, v10, s14, v9
	v_fma_f16 v9, v11, 2.0, -v15
	v_fma_f16 v10, v18, 2.0, -v16
	;; [unrolled: 1-line block ×3, first 2 shown]
	v_fma_f16 v54, v51, s10, v54
	v_fma_f16 v51, v51, s14, v55
	v_sub_f16_e32 v15, v9, v10
	v_fma_f16 v10, v40, 2.0, -v39
	v_fma_f16 v11, v17, 2.0, -v19
	v_sub_f16_e32 v20, v39, v16
	v_fma_f16 v51, v52, s15, v51
	v_sub_f16_e32 v16, v10, v11
	v_fma_f16 v63, v58, s14, v63
	v_fma_f16 v35, v50, s10, v35
	v_fma_f16 v45, v45, 2.0, -v54
	v_fma_f16 v52, v55, 2.0, -v51
	;; [unrolled: 1-line block ×11, first 2 shown]
	v_lshl_or_b32 v17, v25, 6, v33
	v_pack_b32_f16 v12, v45, v52
	v_pack_b32_f16 v11, v13, v21
	;; [unrolled: 1-line block ×4, first 2 shown]
	ds_write_b128 v17, v[9:12]
	v_pack_b32_f16 v12, v60, v64
	v_pack_b32_f16 v11, v46, v48
	v_pack_b32_f16 v9, v42, v43
	v_pack_b32_f16 v10, v53, v65
	ds_write_b128 v17, v[9:12] offset:16
	v_pack_b32_f16 v12, v54, v51
	v_pack_b32_f16 v11, v23, v14
	v_pack_b32_f16 v9, v15, v16
	v_pack_b32_f16 v10, v34, v24
	ds_write_b128 v17, v[9:12] offset:32
	;; [unrolled: 5-line block ×3, first 2 shown]
.LBB0_13:
	s_or_b64 exec, exec, s[4:5]
	s_waitcnt lgkmcnt(0)
	s_barrier
	ds_read2_b32 v[9:10], v32 offset1:16
	ds_read2_b32 v[11:12], v32 offset0:32 offset1:48
	ds_read2_b32 v[13:14], v32 offset0:64 offset1:80
	;; [unrolled: 1-line block ×3, first 2 shown]
	s_mov_b32 s4, 0xb9a8
	s_waitcnt lgkmcnt(3)
	v_lshrrev_b32_e32 v17, 16, v10
	v_mul_f16_sdwa v24, v0, v17 dst_sel:DWORD dst_unused:UNUSED_PAD src0_sel:WORD_1 src1_sel:DWORD
	s_waitcnt lgkmcnt(2)
	v_lshrrev_b32_e32 v18, 16, v11
	v_fma_f16 v24, v0, v10, v24
	v_mul_f16_sdwa v10, v0, v10 dst_sel:DWORD dst_unused:UNUSED_PAD src0_sel:WORD_1 src1_sel:DWORD
	v_fma_f16 v0, v0, v17, -v10
	v_mul_f16_sdwa v10, v1, v18 dst_sel:DWORD dst_unused:UNUSED_PAD src0_sel:WORD_1 src1_sel:DWORD
	v_lshrrev_b32_e32 v19, 16, v12
	v_fma_f16 v10, v1, v11, v10
	v_mul_f16_sdwa v11, v1, v11 dst_sel:DWORD dst_unused:UNUSED_PAD src0_sel:WORD_1 src1_sel:DWORD
	v_fma_f16 v1, v1, v18, -v11
	v_mul_f16_sdwa v11, v2, v19 dst_sel:DWORD dst_unused:UNUSED_PAD src0_sel:WORD_1 src1_sel:DWORD
	s_waitcnt lgkmcnt(1)
	v_lshrrev_b32_e32 v20, 16, v13
	v_fma_f16 v11, v2, v12, v11
	v_mul_f16_sdwa v12, v2, v12 dst_sel:DWORD dst_unused:UNUSED_PAD src0_sel:WORD_1 src1_sel:DWORD
	v_fma_f16 v2, v2, v19, -v12
	v_mul_f16_sdwa v12, v3, v20 dst_sel:DWORD dst_unused:UNUSED_PAD src0_sel:WORD_1 src1_sel:DWORD
	v_lshrrev_b32_e32 v21, 16, v14
	v_fma_f16 v12, v3, v13, v12
	v_mul_f16_sdwa v13, v3, v13 dst_sel:DWORD dst_unused:UNUSED_PAD src0_sel:WORD_1 src1_sel:DWORD
	v_fma_f16 v3, v3, v20, -v13
	;; [unrolled: 11-line block ×3, first 2 shown]
	v_mul_f16_sdwa v15, v7, v23 dst_sel:DWORD dst_unused:UNUSED_PAD src0_sel:WORD_1 src1_sel:DWORD
	v_fma_f16 v15, v7, v16, v15
	v_mul_f16_sdwa v16, v7, v16 dst_sel:DWORD dst_unused:UNUSED_PAD src0_sel:WORD_1 src1_sel:DWORD
	v_lshrrev_b32_e32 v4, 16, v9
	v_fma_f16 v7, v7, v23, -v16
	v_sub_f16_e32 v12, v9, v12
	v_sub_f16_e32 v3, v4, v3
	;; [unrolled: 1-line block ×8, first 2 shown]
	v_fma_f16 v9, v9, 2.0, -v12
	v_fma_f16 v4, v4, 2.0, -v3
	;; [unrolled: 1-line block ×8, first 2 shown]
	v_add_f16_e32 v6, v12, v6
	v_sub_f16_e32 v14, v3, v14
	v_add_f16_e32 v7, v13, v7
	v_sub_f16_e32 v15, v5, v15
	v_sub_f16_e32 v10, v9, v10
	;; [unrolled: 1-line block ×3, first 2 shown]
	v_fma_f16 v12, v12, 2.0, -v6
	v_fma_f16 v3, v3, 2.0, -v14
	v_sub_f16_e32 v11, v16, v11
	v_sub_f16_e32 v2, v0, v2
	v_fma_f16 v13, v13, 2.0, -v7
	v_fma_f16 v5, v5, 2.0, -v15
	;; [unrolled: 1-line block ×6, first 2 shown]
	v_fma_f16 v17, v13, s4, v12
	v_fma_f16 v18, v5, s4, v3
	s_movk_i32 s5, 0x39a8
	v_sub_f16_e32 v16, v9, v16
	v_sub_f16_e32 v0, v4, v0
	v_fma_f16 v5, v5, s5, v17
	v_fma_f16 v13, v13, s4, v18
	;; [unrolled: 1-line block ×4, first 2 shown]
	v_fma_f16 v9, v9, 2.0, -v16
	v_fma_f16 v4, v4, 2.0, -v0
	;; [unrolled: 1-line block ×4, first 2 shown]
	v_add_f16_e32 v2, v10, v2
	v_sub_f16_e32 v11, v1, v11
	v_fma_f16 v15, v15, s5, v17
	v_fma_f16 v7, v7, s4, v18
	v_fma_f16 v10, v10, 2.0, -v2
	v_fma_f16 v1, v1, 2.0, -v11
	;; [unrolled: 1-line block ×4, first 2 shown]
	v_pack_b32_f16 v4, v9, v4
	v_pack_b32_f16 v3, v12, v3
	ds_write2_b32 v32, v4, v3 offset1:16
	v_pack_b32_f16 v1, v10, v1
	v_pack_b32_f16 v3, v6, v14
	ds_write2_b32 v32, v1, v3 offset0:32 offset1:48
	v_pack_b32_f16 v0, v16, v0
	v_pack_b32_f16 v1, v5, v13
	ds_write2_b32 v32, v0, v1 offset0:64 offset1:80
	;; [unrolled: 3-line block ×3, first 2 shown]
	s_waitcnt lgkmcnt(0)
	s_barrier
	s_and_b64 exec, exec, vcc
	s_cbranch_execz .LBB0_15
; %bb.14:
	global_load_dword v16, v27, s[6:7]
	global_load_dword v17, v27, s[6:7] offset:32
	global_load_dword v18, v27, s[6:7] offset:64
	;; [unrolled: 1-line block ×3, first 2 shown]
	ds_read_b32 v20, v32
	ds_read2_b32 v[4:5], v26 offset0:8 offset1:16
	ds_read2_b32 v[9:10], v26 offset0:24 offset1:32
	global_load_dword v22, v27, s[6:7] offset:128
	global_load_dword v23, v27, s[6:7] offset:160
	;; [unrolled: 1-line block ×4, first 2 shown]
	v_mad_u64_u32 v[0:1], s[4:5], s2, v8, 0
	v_mad_u64_u32 v[2:3], s[4:5], s0, v25, 0
	;; [unrolled: 1-line block ×4, first 2 shown]
	s_waitcnt lgkmcnt(1)
	v_mad_u64_u32 v[14:15], s[8:9], s1, v25, v[3:4]
	v_mov_b32_e32 v1, v13
	v_mad_u64_u32 v[7:8], s[8:9], s1, v31, v[7:8]
	v_lshlrev_b64 v[0:1], 2, v[0:1]
	v_mov_b32_e32 v3, v14
	v_mov_b32_e32 v21, s13
	v_lshlrev_b64 v[2:3], 2, v[2:3]
	v_add_co_u32_e32 v13, vcc, s12, v0
	v_addc_co_u32_e32 v14, vcc, v21, v1, vcc
	v_lshrrev_b32_e32 v34, 16, v20
	v_lshlrev_b64 v[6:7], 2, v[6:7]
	v_add_co_u32_e32 v0, vcc, v13, v2
	v_mad_u64_u32 v[11:12], s[8:9], s0, v30, 0
	v_lshrrev_b32_e32 v15, 16, v4
	v_lshrrev_b32_e32 v8, 16, v5
	v_addc_co_u32_e32 v1, vcc, v14, v3, vcc
	s_movk_i32 s2, 0x2000
	v_add_co_u32_e32 v2, vcc, v13, v6
	s_lshl_b64 s[4:5], s[0:1], 6
	v_addc_co_u32_e32 v3, vcc, v14, v7, vcc
	v_mov_b32_e32 v33, s5
	v_add_co_u32_e32 v6, vcc, s4, v0
	v_addc_co_u32_e32 v7, vcc, v1, v33, vcc
	s_waitcnt lgkmcnt(0)
	v_lshrrev_b32_e32 v31, 16, v9
	s_waitcnt vmcnt(7)
	v_mul_f16_sdwa v21, v34, v16 dst_sel:DWORD dst_unused:UNUSED_PAD src0_sel:DWORD src1_sel:WORD_1
	v_mul_f16_sdwa v35, v20, v16 dst_sel:DWORD dst_unused:UNUSED_PAD src0_sel:DWORD src1_sel:WORD_1
	s_waitcnt vmcnt(6)
	v_mul_f16_sdwa v36, v15, v17 dst_sel:DWORD dst_unused:UNUSED_PAD src0_sel:DWORD src1_sel:WORD_1
	v_mul_f16_sdwa v37, v4, v17 dst_sel:DWORD dst_unused:UNUSED_PAD src0_sel:DWORD src1_sel:WORD_1
	;; [unrolled: 3-line block ×3, first 2 shown]
	v_fma_f16 v20, v20, v16, v21
	v_fma_f16 v16, v16, v34, -v35
	v_fma_f16 v4, v4, v17, v36
	v_fma_f16 v15, v17, v15, -v37
	;; [unrolled: 2-line block ×3, first 2 shown]
	v_mul_f16_e32 v18, 0x2000, v20
	v_mul_f16_sdwa v16, v16, s2 dst_sel:WORD_1 dst_unused:UNUSED_PAD src0_sel:DWORD src1_sel:DWORD
	v_mul_f16_e32 v4, 0x2000, v4
	v_mul_f16_sdwa v15, v15, s2 dst_sel:WORD_1 dst_unused:UNUSED_PAD src0_sel:DWORD src1_sel:DWORD
	;; [unrolled: 2-line block ×3, first 2 shown]
	v_or_b32_e32 v16, v16, v18
	v_or_b32_e32 v4, v15, v4
	;; [unrolled: 1-line block ×3, first 2 shown]
	global_store_dword v[0:1], v16, off
	global_store_dword v[2:3], v4, off
	;; [unrolled: 1-line block ×3, first 2 shown]
	v_mov_b32_e32 v0, v12
	v_mad_u64_u32 v[0:1], s[8:9], s1, v30, v[0:1]
	s_waitcnt vmcnt(7)
	v_mul_f16_sdwa v40, v31, v19 dst_sel:DWORD dst_unused:UNUSED_PAD src0_sel:DWORD src1_sel:WORD_1
	v_mul_f16_sdwa v1, v9, v19 dst_sel:DWORD dst_unused:UNUSED_PAD src0_sel:DWORD src1_sel:WORD_1
	v_fma_f16 v17, v9, v19, v40
	v_fma_f16 v1, v19, v31, -v1
	v_mul_f16_e32 v17, 0x2000, v17
	v_mul_f16_sdwa v1, v1, s2 dst_sel:WORD_1 dst_unused:UNUSED_PAD src0_sel:DWORD src1_sel:DWORD
	v_mov_b32_e32 v12, v0
	v_or_b32_e32 v2, v1, v17
	v_lshlrev_b64 v[0:1], 2, v[11:12]
	global_load_dword v8, v27, s[6:7] offset:256
	v_add_co_u32_e32 v0, vcc, v13, v0
	v_addc_co_u32_e32 v1, vcc, v14, v1, vcc
	global_store_dword v[0:1], v2, off
	v_lshrrev_b32_e32 v0, 16, v10
	s_waitcnt vmcnt(8)
	v_mul_f16_sdwa v1, v0, v22 dst_sel:DWORD dst_unused:UNUSED_PAD src0_sel:DWORD src1_sel:WORD_1
	v_mul_f16_sdwa v2, v10, v22 dst_sel:DWORD dst_unused:UNUSED_PAD src0_sel:DWORD src1_sel:WORD_1
	v_fma_f16 v1, v10, v22, v1
	v_fma_f16 v0, v22, v0, -v2
	v_mul_f16_e32 v1, 0x2000, v1
	v_mul_f16_sdwa v0, v0, s2 dst_sel:WORD_1 dst_unused:UNUSED_PAD src0_sel:DWORD src1_sel:DWORD
	v_or_b32_e32 v4, v0, v1
	ds_read2_b32 v[0:1], v26 offset0:40 offset1:48
	v_add_co_u32_e32 v2, vcc, s4, v6
	v_addc_co_u32_e32 v3, vcc, v7, v33, vcc
	global_load_dword v7, v27, s[6:7] offset:288
	s_waitcnt lgkmcnt(0)
	v_lshrrev_b32_e32 v9, 16, v0
	global_store_dword v[2:3], v4, off
	v_mad_u64_u32 v[4:5], s[8:9], s0, v29, 0
	s_waitcnt vmcnt(9)
	v_mul_f16_sdwa v6, v9, v23 dst_sel:DWORD dst_unused:UNUSED_PAD src0_sel:DWORD src1_sel:WORD_1
	v_fma_f16 v6, v0, v23, v6
	v_mul_f16_e32 v10, 0x2000, v6
	v_mad_u64_u32 v[5:6], s[8:9], s1, v29, v[5:6]
	v_mul_f16_sdwa v0, v0, v23 dst_sel:DWORD dst_unused:UNUSED_PAD src0_sel:DWORD src1_sel:WORD_1
	v_fma_f16 v0, v23, v9, -v0
	global_load_dword v9, v27, s[6:7] offset:320
	v_lshlrev_b64 v[4:5], 2, v[4:5]
	v_mul_f16_sdwa v0, v0, s2 dst_sel:WORD_1 dst_unused:UNUSED_PAD src0_sel:DWORD src1_sel:DWORD
	v_add_co_u32_e32 v4, vcc, v13, v4
	v_or_b32_e32 v0, v0, v10
	global_load_dword v10, v27, s[6:7] offset:352
	v_addc_co_u32_e32 v5, vcc, v14, v5, vcc
	global_store_dword v[4:5], v0, off
	v_lshrrev_b32_e32 v0, 16, v1
	s_waitcnt vmcnt(11)
	v_mul_f16_sdwa v4, v0, v24 dst_sel:DWORD dst_unused:UNUSED_PAD src0_sel:DWORD src1_sel:WORD_1
	v_fma_f16 v4, v1, v24, v4
	v_mul_f16_sdwa v1, v1, v24 dst_sel:DWORD dst_unused:UNUSED_PAD src0_sel:DWORD src1_sel:WORD_1
	v_fma_f16 v0, v24, v0, -v1
	v_mul_f16_e32 v4, 0x2000, v4
	v_mul_f16_sdwa v0, v0, s2 dst_sel:WORD_1 dst_unused:UNUSED_PAD src0_sel:DWORD src1_sel:DWORD
	v_or_b32_e32 v4, v0, v4
	ds_read2_b32 v[0:1], v26 offset0:56 offset1:64
	v_add_co_u32_e32 v2, vcc, s4, v2
	v_addc_co_u32_e32 v3, vcc, v3, v33, vcc
	s_waitcnt lgkmcnt(0)
	v_lshrrev_b32_e32 v11, 16, v0
	s_waitcnt vmcnt(10)
	v_mul_f16_sdwa v6, v11, v32 dst_sel:DWORD dst_unused:UNUSED_PAD src0_sel:DWORD src1_sel:WORD_1
	v_fma_f16 v6, v0, v32, v6
	v_mul_f16_sdwa v0, v0, v32 dst_sel:DWORD dst_unused:UNUSED_PAD src0_sel:DWORD src1_sel:WORD_1
	v_fma_f16 v0, v32, v11, -v0
	global_load_dword v11, v27, s[6:7] offset:384
	v_mul_f16_e32 v12, 0x2000, v6
	global_store_dword v[2:3], v4, off
	v_mad_u64_u32 v[4:5], s[8:9], s0, v28, 0
	v_mul_f16_sdwa v0, v0, s2 dst_sel:WORD_1 dst_unused:UNUSED_PAD src0_sel:DWORD src1_sel:DWORD
	v_or_b32_e32 v0, v0, v12
	v_mad_u64_u32 v[5:6], s[8:9], s1, v28, v[5:6]
	v_or_b32_e32 v6, 0x48, v25
	v_lshlrev_b64 v[4:5], 2, v[4:5]
	v_add_co_u32_e32 v4, vcc, v13, v4
	v_addc_co_u32_e32 v5, vcc, v14, v5, vcc
	global_store_dword v[4:5], v0, off
	global_load_dword v12, v27, s[6:7] offset:416
	global_load_dword v15, v27, s[6:7] offset:448
	;; [unrolled: 1-line block ×3, first 2 shown]
	v_lshrrev_b32_e32 v0, 16, v1
	v_add_co_u32_e32 v2, vcc, s4, v2
	s_waitcnt vmcnt(12)
	v_mul_f16_sdwa v4, v0, v8 dst_sel:DWORD dst_unused:UNUSED_PAD src0_sel:DWORD src1_sel:WORD_1
	v_fma_f16 v4, v1, v8, v4
	v_mul_f16_sdwa v1, v1, v8 dst_sel:DWORD dst_unused:UNUSED_PAD src0_sel:DWORD src1_sel:WORD_1
	v_fma_f16 v0, v8, v0, -v1
	v_mul_f16_e32 v4, 0x2000, v4
	v_mul_f16_sdwa v0, v0, s2 dst_sel:WORD_1 dst_unused:UNUSED_PAD src0_sel:DWORD src1_sel:DWORD
	v_or_b32_e32 v4, v0, v4
	v_addc_co_u32_e32 v3, vcc, v3, v33, vcc
	global_store_dword v[2:3], v4, off
	v_mad_u64_u32 v[4:5], s[6:7], s0, v6, 0
	ds_read2_b32 v[0:1], v26 offset0:72 offset1:80
	v_mad_u64_u32 v[5:6], s[6:7], s1, v6, v[5:6]
	v_or_b32_e32 v6, 0x58, v25
	s_waitcnt lgkmcnt(0)
	v_lshrrev_b32_e32 v8, 16, v0
	s_waitcnt vmcnt(11)
	v_mul_f16_sdwa v17, v8, v7 dst_sel:DWORD dst_unused:UNUSED_PAD src0_sel:DWORD src1_sel:WORD_1
	v_fma_f16 v17, v0, v7, v17
	v_mul_f16_sdwa v0, v0, v7 dst_sel:DWORD dst_unused:UNUSED_PAD src0_sel:DWORD src1_sel:WORD_1
	v_lshlrev_b64 v[4:5], 2, v[4:5]
	v_fma_f16 v0, v7, v8, -v0
	v_mul_f16_e32 v17, 0x2000, v17
	v_mul_f16_sdwa v0, v0, s2 dst_sel:WORD_1 dst_unused:UNUSED_PAD src0_sel:DWORD src1_sel:DWORD
	v_add_co_u32_e32 v4, vcc, v13, v4
	v_or_b32_e32 v0, v0, v17
	v_addc_co_u32_e32 v5, vcc, v14, v5, vcc
	global_store_dword v[4:5], v0, off
	v_lshrrev_b32_e32 v0, 16, v1
	s_waitcnt vmcnt(10)
	v_mul_f16_sdwa v4, v0, v9 dst_sel:DWORD dst_unused:UNUSED_PAD src0_sel:DWORD src1_sel:WORD_1
	v_fma_f16 v4, v1, v9, v4
	v_mul_f16_sdwa v1, v1, v9 dst_sel:DWORD dst_unused:UNUSED_PAD src0_sel:DWORD src1_sel:WORD_1
	v_fma_f16 v0, v9, v0, -v1
	v_mul_f16_e32 v4, 0x2000, v4
	v_mul_f16_sdwa v0, v0, s2 dst_sel:WORD_1 dst_unused:UNUSED_PAD src0_sel:DWORD src1_sel:DWORD
	v_add_co_u32_e32 v2, vcc, s4, v2
	v_or_b32_e32 v4, v0, v4
	v_addc_co_u32_e32 v3, vcc, v3, v33, vcc
	global_store_dword v[2:3], v4, off
	v_mad_u64_u32 v[4:5], s[6:7], s0, v6, 0
	ds_read2_b32 v[0:1], v26 offset0:88 offset1:96
	v_mad_u64_u32 v[5:6], s[6:7], s1, v6, v[5:6]
	v_or_b32_e32 v6, 0x68, v25
	s_waitcnt lgkmcnt(0)
	v_lshrrev_b32_e32 v7, 16, v0
	s_waitcnt vmcnt(10)
	v_mul_f16_sdwa v8, v7, v10 dst_sel:DWORD dst_unused:UNUSED_PAD src0_sel:DWORD src1_sel:WORD_1
	v_fma_f16 v8, v0, v10, v8
	v_mul_f16_sdwa v0, v0, v10 dst_sel:DWORD dst_unused:UNUSED_PAD src0_sel:DWORD src1_sel:WORD_1
	v_lshlrev_b64 v[4:5], 2, v[4:5]
	v_fma_f16 v0, v10, v7, -v0
	v_mul_f16_e32 v8, 0x2000, v8
	v_mul_f16_sdwa v0, v0, s2 dst_sel:WORD_1 dst_unused:UNUSED_PAD src0_sel:DWORD src1_sel:DWORD
	v_add_co_u32_e32 v4, vcc, v13, v4
	v_or_b32_e32 v0, v0, v8
	v_addc_co_u32_e32 v5, vcc, v14, v5, vcc
	global_store_dword v[4:5], v0, off
	v_lshrrev_b32_e32 v0, 16, v1
	s_waitcnt vmcnt(9)
	v_mul_f16_sdwa v4, v0, v11 dst_sel:DWORD dst_unused:UNUSED_PAD src0_sel:DWORD src1_sel:WORD_1
	v_fma_f16 v4, v1, v11, v4
	v_mul_f16_sdwa v1, v1, v11 dst_sel:DWORD dst_unused:UNUSED_PAD src0_sel:DWORD src1_sel:WORD_1
	v_fma_f16 v0, v11, v0, -v1
	v_mul_f16_e32 v4, 0x2000, v4
	v_mul_f16_sdwa v0, v0, s2 dst_sel:WORD_1 dst_unused:UNUSED_PAD src0_sel:DWORD src1_sel:DWORD
	v_add_co_u32_e32 v2, vcc, s4, v2
	v_or_b32_e32 v4, v0, v4
	v_addc_co_u32_e32 v3, vcc, v3, v33, vcc
	global_store_dword v[2:3], v4, off
	v_mad_u64_u32 v[4:5], s[6:7], s0, v6, 0
	ds_read2_b32 v[0:1], v26 offset0:104 offset1:112
	v_mad_u64_u32 v[5:6], s[6:7], s1, v6, v[5:6]
	s_waitcnt lgkmcnt(0)
	v_lshrrev_b32_e32 v7, 16, v0
	s_waitcnt vmcnt(7)
	v_mul_f16_sdwa v8, v7, v12 dst_sel:DWORD dst_unused:UNUSED_PAD src0_sel:DWORD src1_sel:WORD_1
	v_fma_f16 v8, v0, v12, v8
	v_mul_f16_sdwa v0, v0, v12 dst_sel:DWORD dst_unused:UNUSED_PAD src0_sel:DWORD src1_sel:WORD_1
	v_lshlrev_b64 v[4:5], 2, v[4:5]
	v_fma_f16 v0, v12, v7, -v0
	v_mul_f16_e32 v8, 0x2000, v8
	v_mul_f16_sdwa v0, v0, s2 dst_sel:WORD_1 dst_unused:UNUSED_PAD src0_sel:DWORD src1_sel:DWORD
	v_add_co_u32_e32 v4, vcc, v13, v4
	v_or_b32_e32 v0, v0, v8
	v_addc_co_u32_e32 v5, vcc, v14, v5, vcc
	global_store_dword v[4:5], v0, off
	v_lshrrev_b32_e32 v0, 16, v1
	s_waitcnt vmcnt(7)
	v_mul_f16_sdwa v4, v0, v15 dst_sel:DWORD dst_unused:UNUSED_PAD src0_sel:DWORD src1_sel:WORD_1
	v_fma_f16 v4, v1, v15, v4
	v_mul_f16_sdwa v1, v1, v15 dst_sel:DWORD dst_unused:UNUSED_PAD src0_sel:DWORD src1_sel:WORD_1
	v_fma_f16 v0, v15, v0, -v1
	v_mul_f16_e32 v4, 0x2000, v4
	v_mul_f16_sdwa v0, v0, s2 dst_sel:WORD_1 dst_unused:UNUSED_PAD src0_sel:DWORD src1_sel:DWORD
	v_or_b32_e32 v4, v0, v4
	v_add_co_u32_e32 v0, vcc, s4, v2
	v_addc_co_u32_e32 v1, vcc, v3, v33, vcc
	v_or_b32_e32 v2, 0x78, v25
	global_store_dword v[0:1], v4, off
	v_mad_u64_u32 v[0:1], s[4:5], s0, v2, 0
	ds_read_b32 v5, v26 offset:480
	v_mad_u64_u32 v[1:2], s[0:1], s1, v2, v[1:2]
	s_waitcnt lgkmcnt(0)
	v_lshrrev_b32_e32 v3, 16, v5
	s_waitcnt vmcnt(7)
	v_mul_f16_sdwa v4, v3, v16 dst_sel:DWORD dst_unused:UNUSED_PAD src0_sel:DWORD src1_sel:WORD_1
	v_mul_f16_sdwa v2, v5, v16 dst_sel:DWORD dst_unused:UNUSED_PAD src0_sel:DWORD src1_sel:WORD_1
	v_lshlrev_b64 v[0:1], 2, v[0:1]
	v_fma_f16 v4, v5, v16, v4
	v_fma_f16 v2, v16, v3, -v2
	v_mul_f16_e32 v4, 0x2000, v4
	v_mul_f16_sdwa v2, v2, s2 dst_sel:WORD_1 dst_unused:UNUSED_PAD src0_sel:DWORD src1_sel:DWORD
	v_add_co_u32_e32 v0, vcc, v13, v0
	v_or_b32_e32 v2, v2, v4
	v_addc_co_u32_e32 v1, vcc, v14, v1, vcc
	global_store_dword v[0:1], v2, off
.LBB0_15:
	s_endpgm
	.section	.rodata,"a",@progbits
	.p2align	6, 0x0
	.amdhsa_kernel bluestein_single_back_len128_dim1_half_op_CI_CI
		.amdhsa_group_segment_fixed_size 8192
		.amdhsa_private_segment_fixed_size 0
		.amdhsa_kernarg_size 104
		.amdhsa_user_sgpr_count 6
		.amdhsa_user_sgpr_private_segment_buffer 1
		.amdhsa_user_sgpr_dispatch_ptr 0
		.amdhsa_user_sgpr_queue_ptr 0
		.amdhsa_user_sgpr_kernarg_segment_ptr 1
		.amdhsa_user_sgpr_dispatch_id 0
		.amdhsa_user_sgpr_flat_scratch_init 0
		.amdhsa_user_sgpr_private_segment_size 0
		.amdhsa_uses_dynamic_stack 0
		.amdhsa_system_sgpr_private_segment_wavefront_offset 0
		.amdhsa_system_sgpr_workgroup_id_x 1
		.amdhsa_system_sgpr_workgroup_id_y 0
		.amdhsa_system_sgpr_workgroup_id_z 0
		.amdhsa_system_sgpr_workgroup_info 0
		.amdhsa_system_vgpr_workitem_id 0
		.amdhsa_next_free_vgpr 66
		.amdhsa_next_free_sgpr 16
		.amdhsa_reserve_vcc 1
		.amdhsa_reserve_flat_scratch 0
		.amdhsa_float_round_mode_32 0
		.amdhsa_float_round_mode_16_64 0
		.amdhsa_float_denorm_mode_32 3
		.amdhsa_float_denorm_mode_16_64 3
		.amdhsa_dx10_clamp 1
		.amdhsa_ieee_mode 1
		.amdhsa_fp16_overflow 0
		.amdhsa_exception_fp_ieee_invalid_op 0
		.amdhsa_exception_fp_denorm_src 0
		.amdhsa_exception_fp_ieee_div_zero 0
		.amdhsa_exception_fp_ieee_overflow 0
		.amdhsa_exception_fp_ieee_underflow 0
		.amdhsa_exception_fp_ieee_inexact 0
		.amdhsa_exception_int_div_zero 0
	.end_amdhsa_kernel
	.text
.Lfunc_end0:
	.size	bluestein_single_back_len128_dim1_half_op_CI_CI, .Lfunc_end0-bluestein_single_back_len128_dim1_half_op_CI_CI
                                        ; -- End function
	.section	.AMDGPU.csdata,"",@progbits
; Kernel info:
; codeLenInByte = 8988
; NumSgprs: 20
; NumVgprs: 66
; ScratchSize: 0
; MemoryBound: 0
; FloatMode: 240
; IeeeMode: 1
; LDSByteSize: 8192 bytes/workgroup (compile time only)
; SGPRBlocks: 2
; VGPRBlocks: 16
; NumSGPRsForWavesPerEU: 20
; NumVGPRsForWavesPerEU: 66
; Occupancy: 3
; WaveLimiterHint : 1
; COMPUTE_PGM_RSRC2:SCRATCH_EN: 0
; COMPUTE_PGM_RSRC2:USER_SGPR: 6
; COMPUTE_PGM_RSRC2:TRAP_HANDLER: 0
; COMPUTE_PGM_RSRC2:TGID_X_EN: 1
; COMPUTE_PGM_RSRC2:TGID_Y_EN: 0
; COMPUTE_PGM_RSRC2:TGID_Z_EN: 0
; COMPUTE_PGM_RSRC2:TIDIG_COMP_CNT: 0
	.type	__hip_cuid_577dbfb81b65e41d,@object ; @__hip_cuid_577dbfb81b65e41d
	.section	.bss,"aw",@nobits
	.globl	__hip_cuid_577dbfb81b65e41d
__hip_cuid_577dbfb81b65e41d:
	.byte	0                               ; 0x0
	.size	__hip_cuid_577dbfb81b65e41d, 1

	.ident	"AMD clang version 19.0.0git (https://github.com/RadeonOpenCompute/llvm-project roc-6.4.0 25133 c7fe45cf4b819c5991fe208aaa96edf142730f1d)"
	.section	".note.GNU-stack","",@progbits
	.addrsig
	.addrsig_sym __hip_cuid_577dbfb81b65e41d
	.amdgpu_metadata
---
amdhsa.kernels:
  - .args:
      - .actual_access:  read_only
        .address_space:  global
        .offset:         0
        .size:           8
        .value_kind:     global_buffer
      - .actual_access:  read_only
        .address_space:  global
        .offset:         8
        .size:           8
        .value_kind:     global_buffer
      - .actual_access:  read_only
        .address_space:  global
        .offset:         16
        .size:           8
        .value_kind:     global_buffer
      - .actual_access:  read_only
        .address_space:  global
        .offset:         24
        .size:           8
        .value_kind:     global_buffer
      - .actual_access:  read_only
        .address_space:  global
        .offset:         32
        .size:           8
        .value_kind:     global_buffer
      - .offset:         40
        .size:           8
        .value_kind:     by_value
      - .address_space:  global
        .offset:         48
        .size:           8
        .value_kind:     global_buffer
      - .address_space:  global
        .offset:         56
        .size:           8
        .value_kind:     global_buffer
      - .address_space:  global
        .offset:         64
        .size:           8
        .value_kind:     global_buffer
      - .address_space:  global
        .offset:         72
        .size:           8
        .value_kind:     global_buffer
      - .offset:         80
        .size:           4
        .value_kind:     by_value
      - .address_space:  global
        .offset:         88
        .size:           8
        .value_kind:     global_buffer
      - .address_space:  global
        .offset:         96
        .size:           8
        .value_kind:     global_buffer
    .group_segment_fixed_size: 8192
    .kernarg_segment_align: 8
    .kernarg_segment_size: 104
    .language:       OpenCL C
    .language_version:
      - 2
      - 0
    .max_flat_workgroup_size: 256
    .name:           bluestein_single_back_len128_dim1_half_op_CI_CI
    .private_segment_fixed_size: 0
    .sgpr_count:     20
    .sgpr_spill_count: 0
    .symbol:         bluestein_single_back_len128_dim1_half_op_CI_CI.kd
    .uniform_work_group_size: 1
    .uses_dynamic_stack: false
    .vgpr_count:     66
    .vgpr_spill_count: 0
    .wavefront_size: 64
amdhsa.target:   amdgcn-amd-amdhsa--gfx906
amdhsa.version:
  - 1
  - 2
...

	.end_amdgpu_metadata
